;; amdgpu-corpus repo=ROCm/rocFFT kind=compiled arch=gfx950 opt=O3
	.text
	.amdgcn_target "amdgcn-amd-amdhsa--gfx950"
	.amdhsa_code_object_version 6
	.protected	fft_rtc_fwd_len26_factors_13_2_wgs_64_tpt_2_halfLds_dp_ip_CI_unitstride_sbrr_R2C_dirReg ; -- Begin function fft_rtc_fwd_len26_factors_13_2_wgs_64_tpt_2_halfLds_dp_ip_CI_unitstride_sbrr_R2C_dirReg
	.globl	fft_rtc_fwd_len26_factors_13_2_wgs_64_tpt_2_halfLds_dp_ip_CI_unitstride_sbrr_R2C_dirReg
	.p2align	8
	.type	fft_rtc_fwd_len26_factors_13_2_wgs_64_tpt_2_halfLds_dp_ip_CI_unitstride_sbrr_R2C_dirReg,@function
fft_rtc_fwd_len26_factors_13_2_wgs_64_tpt_2_halfLds_dp_ip_CI_unitstride_sbrr_R2C_dirReg: ; @fft_rtc_fwd_len26_factors_13_2_wgs_64_tpt_2_halfLds_dp_ip_CI_unitstride_sbrr_R2C_dirReg
; %bb.0:
	s_load_dwordx2 s[8:9], s[0:1], 0x50
	s_load_dwordx4 s[4:7], s[0:1], 0x0
	s_load_dwordx2 s[10:11], s[0:1], 0x18
	v_lshrrev_b32_e32 v1, 1, v0
	v_lshl_or_b32 v6, s2, 5, v1
	v_mov_b32_e32 v4, 0
	s_waitcnt lgkmcnt(0)
	v_cmp_lt_u64_e64 s[2:3], s[6:7], 2
	v_mov_b32_e32 v7, v4
	s_and_b64 vcc, exec, s[2:3]
	v_mov_b64_e32 v[2:3], 0
	s_cbranch_vccnz .LBB0_8
; %bb.1:
	s_load_dwordx2 s[2:3], s[0:1], 0x10
	s_add_u32 s12, s10, 8
	s_addc_u32 s13, s11, 0
	s_mov_b64 s[14:15], 1
	v_mov_b64_e32 v[2:3], 0
	s_waitcnt lgkmcnt(0)
	s_add_u32 s16, s2, 8
	s_addc_u32 s17, s3, 0
.LBB0_2:                                ; =>This Inner Loop Header: Depth=1
	s_load_dwordx2 s[18:19], s[16:17], 0x0
                                        ; implicit-def: $vgpr8_vgpr9
	s_waitcnt lgkmcnt(0)
	v_or_b32_e32 v5, s19, v7
	v_cmp_ne_u64_e32 vcc, 0, v[4:5]
	s_and_saveexec_b64 s[2:3], vcc
	s_xor_b64 s[20:21], exec, s[2:3]
	s_cbranch_execz .LBB0_4
; %bb.3:                                ;   in Loop: Header=BB0_2 Depth=1
	v_cvt_f32_u32_e32 v5, s18
	v_cvt_f32_u32_e32 v8, s19
	s_sub_u32 s2, 0, s18
	s_subb_u32 s3, 0, s19
	v_fmac_f32_e32 v5, 0x4f800000, v8
	v_rcp_f32_e32 v5, v5
	s_nop 0
	v_mul_f32_e32 v5, 0x5f7ffffc, v5
	v_mul_f32_e32 v8, 0x2f800000, v5
	v_trunc_f32_e32 v8, v8
	v_fmac_f32_e32 v5, 0xcf800000, v8
	v_cvt_u32_f32_e32 v12, v8
	v_cvt_u32_f32_e32 v5, v5
	v_mul_lo_u32 v8, s2, v12
	v_mul_hi_u32 v10, s2, v5
	v_mul_lo_u32 v9, s3, v5
	v_add_u32_e32 v10, v10, v8
	v_mul_lo_u32 v13, s2, v5
	v_add_u32_e32 v14, v10, v9
	v_mul_hi_u32 v8, v5, v13
	v_mul_hi_u32 v11, v5, v14
	v_mul_lo_u32 v10, v5, v14
	v_mov_b32_e32 v9, v4
	v_lshl_add_u64 v[8:9], v[8:9], 0, v[10:11]
	v_mul_hi_u32 v11, v12, v13
	v_mul_lo_u32 v13, v12, v13
	v_add_co_u32_e32 v8, vcc, v8, v13
	v_mul_hi_u32 v10, v12, v14
	s_nop 0
	v_addc_co_u32_e32 v8, vcc, v9, v11, vcc
	v_mov_b32_e32 v9, v4
	s_nop 0
	v_addc_co_u32_e32 v11, vcc, 0, v10, vcc
	v_mul_lo_u32 v10, v12, v14
	v_lshl_add_u64 v[8:9], v[8:9], 0, v[10:11]
	v_add_co_u32_e32 v5, vcc, v5, v8
	v_mul_lo_u32 v10, s2, v5
	s_nop 0
	v_addc_co_u32_e32 v12, vcc, v12, v9, vcc
	v_mul_lo_u32 v8, s2, v12
	v_mul_hi_u32 v9, s2, v5
	v_add_u32_e32 v8, v9, v8
	v_mul_lo_u32 v9, s3, v5
	v_add_u32_e32 v13, v8, v9
	v_mul_hi_u32 v15, v12, v10
	v_mul_lo_u32 v16, v12, v10
	v_mul_hi_u32 v9, v5, v13
	v_mul_lo_u32 v8, v5, v13
	v_mul_hi_u32 v10, v5, v10
	v_mov_b32_e32 v11, v4
	v_lshl_add_u64 v[8:9], v[10:11], 0, v[8:9]
	v_add_co_u32_e32 v8, vcc, v8, v16
	v_mul_hi_u32 v14, v12, v13
	s_nop 0
	v_addc_co_u32_e32 v8, vcc, v9, v15, vcc
	v_mul_lo_u32 v10, v12, v13
	s_nop 0
	v_addc_co_u32_e32 v11, vcc, 0, v14, vcc
	v_mov_b32_e32 v9, v4
	v_lshl_add_u64 v[8:9], v[8:9], 0, v[10:11]
	v_add_co_u32_e32 v5, vcc, v5, v8
	v_mul_hi_u32 v10, v6, v5
	s_nop 0
	v_addc_co_u32_e32 v12, vcc, v12, v9, vcc
	v_mad_u64_u32 v[8:9], s[2:3], v6, v12, 0
	v_mov_b32_e32 v11, v4
	v_lshl_add_u64 v[8:9], v[10:11], 0, v[8:9]
	v_mad_u64_u32 v[10:11], s[2:3], v7, v12, 0
	v_mad_u64_u32 v[12:13], s[2:3], v7, v5, 0
	v_add_co_u32_e32 v5, vcc, v8, v12
	s_nop 1
	v_addc_co_u32_e32 v8, vcc, v9, v13, vcc
	v_mov_b32_e32 v9, v4
	s_nop 0
	v_addc_co_u32_e32 v11, vcc, 0, v11, vcc
	v_lshl_add_u64 v[8:9], v[8:9], 0, v[10:11]
	v_mul_lo_u32 v5, s19, v8
	v_mul_lo_u32 v12, s18, v9
	v_mad_u64_u32 v[10:11], s[2:3], s18, v8, 0
	v_add3_u32 v5, v11, v12, v5
	v_sub_u32_e32 v11, v7, v5
	v_mov_b32_e32 v12, s19
	v_sub_co_u32_e32 v14, vcc, v6, v10
	s_nop 1
	v_subb_co_u32_e64 v10, s[2:3], v11, v12, vcc
	v_subrev_co_u32_e64 v11, s[2:3], s18, v14
	v_subb_co_u32_e32 v5, vcc, v7, v5, vcc
	s_nop 0
	v_subbrev_co_u32_e64 v10, s[2:3], 0, v10, s[2:3]
	v_cmp_le_u32_e64 s[2:3], s19, v10
	v_cmp_le_u32_e32 vcc, s19, v5
	s_nop 0
	v_cndmask_b32_e64 v12, 0, -1, s[2:3]
	v_cmp_le_u32_e64 s[2:3], s18, v11
	s_nop 1
	v_cndmask_b32_e64 v11, 0, -1, s[2:3]
	v_cmp_eq_u32_e64 s[2:3], s19, v10
	s_nop 1
	v_cndmask_b32_e64 v15, v12, v11, s[2:3]
	v_lshl_add_u64 v[10:11], v[8:9], 0, 2
	v_lshl_add_u64 v[12:13], v[8:9], 0, 1
	v_cmp_ne_u32_e64 s[2:3], 0, v15
	s_nop 1
	v_cndmask_b32_e64 v11, v13, v11, s[2:3]
	v_cndmask_b32_e64 v13, 0, -1, vcc
	v_cmp_le_u32_e32 vcc, s18, v14
	s_nop 1
	v_cndmask_b32_e64 v14, 0, -1, vcc
	v_cmp_eq_u32_e32 vcc, s19, v5
	s_nop 1
	v_cndmask_b32_e32 v5, v13, v14, vcc
	v_cmp_ne_u32_e32 vcc, 0, v5
	v_cndmask_b32_e64 v5, v12, v10, s[2:3]
	s_nop 0
	v_cndmask_b32_e32 v9, v9, v11, vcc
	v_cndmask_b32_e32 v8, v8, v5, vcc
.LBB0_4:                                ;   in Loop: Header=BB0_2 Depth=1
	s_andn2_saveexec_b64 s[2:3], s[20:21]
	s_cbranch_execz .LBB0_6
; %bb.5:                                ;   in Loop: Header=BB0_2 Depth=1
	v_cvt_f32_u32_e32 v5, s18
	s_sub_i32 s20, 0, s18
	v_rcp_iflag_f32_e32 v5, v5
	s_nop 0
	v_mul_f32_e32 v5, 0x4f7ffffe, v5
	v_cvt_u32_f32_e32 v5, v5
	v_mul_lo_u32 v8, s20, v5
	v_mul_hi_u32 v8, v5, v8
	v_add_u32_e32 v5, v5, v8
	v_mul_hi_u32 v5, v6, v5
	v_mul_lo_u32 v8, v5, s18
	v_sub_u32_e32 v8, v6, v8
	v_add_u32_e32 v9, 1, v5
	v_subrev_u32_e32 v10, s18, v8
	v_cmp_le_u32_e32 vcc, s18, v8
	s_nop 1
	v_cndmask_b32_e32 v8, v8, v10, vcc
	v_cndmask_b32_e32 v5, v5, v9, vcc
	v_add_u32_e32 v9, 1, v5
	v_cmp_le_u32_e32 vcc, s18, v8
	s_nop 1
	v_cndmask_b32_e32 v8, v5, v9, vcc
	v_mov_b32_e32 v9, v4
.LBB0_6:                                ;   in Loop: Header=BB0_2 Depth=1
	s_or_b64 exec, exec, s[2:3]
	v_mad_u64_u32 v[10:11], s[2:3], v8, s18, 0
	s_load_dwordx2 s[2:3], s[12:13], 0x0
	v_mul_lo_u32 v5, v9, s18
	v_mul_lo_u32 v12, v8, s19
	v_add3_u32 v5, v11, v12, v5
	v_sub_co_u32_e32 v6, vcc, v6, v10
	s_add_u32 s14, s14, 1
	s_nop 0
	v_subb_co_u32_e32 v5, vcc, v7, v5, vcc
	s_addc_u32 s15, s15, 0
	s_waitcnt lgkmcnt(0)
	v_mul_lo_u32 v5, s2, v5
	v_mul_lo_u32 v7, s3, v6
	v_mad_u64_u32 v[2:3], s[2:3], s2, v6, v[2:3]
	s_add_u32 s12, s12, 8
	v_add3_u32 v3, v7, v3, v5
	s_addc_u32 s13, s13, 0
	v_mov_b64_e32 v[6:7], s[6:7]
	s_add_u32 s16, s16, 8
	v_cmp_ge_u64_e32 vcc, s[14:15], v[6:7]
	s_addc_u32 s17, s17, 0
	s_cbranch_vccnz .LBB0_9
; %bb.7:                                ;   in Loop: Header=BB0_2 Depth=1
	v_mov_b64_e32 v[6:7], v[8:9]
	s_branch .LBB0_2
.LBB0_8:
	v_mov_b64_e32 v[8:9], v[6:7]
.LBB0_9:
	s_lshl_b64 s[2:3], s[6:7], 3
	s_add_u32 s2, s10, s2
	s_addc_u32 s3, s11, s3
	s_load_dwordx2 s[6:7], s[2:3], 0x0
	s_load_dwordx2 s[10:11], s[0:1], 0x20
	v_and_b32_e32 v61, 1, v0
	v_or_b32_e32 v60, 2, v61
	v_or_b32_e32 v68, 4, v61
	s_waitcnt lgkmcnt(0)
	v_mul_lo_u32 v4, s6, v9
	v_mul_lo_u32 v5, s7, v8
	v_mad_u64_u32 v[2:3], s[0:1], s6, v8, v[2:3]
	v_add3_u32 v3, v5, v3, v4
	v_cmp_gt_u64_e32 vcc, s[10:11], v[8:9]
	v_cmp_le_u64_e64 s[0:1], s[10:11], v[8:9]
	v_or_b32_e32 v66, 6, v61
	v_or_b32_e32 v64, 8, v61
	;; [unrolled: 1-line block ×3, first 2 shown]
	s_and_saveexec_b64 s[2:3], s[0:1]
	s_xor_b64 s[0:1], exec, s[2:3]
; %bb.10:
	v_or_b32_e32 v60, 2, v61
	v_or_b32_e32 v68, 4, v61
	;; [unrolled: 1-line block ×5, first 2 shown]
; %bb.11:
	s_or_saveexec_b64 s[0:1], s[0:1]
	v_mul_u32_u24_e32 v0, 27, v1
	v_lshl_add_u64 v[56:57], v[2:3], 4, s[8:9]
	v_lshlrev_b32_e32 v58, 4, v61
	v_lshlrev_b32_e32 v0, 4, v0
	s_xor_b64 exec, exec, s[0:1]
	s_cbranch_execz .LBB0_13
; %bb.12:
	v_mov_b32_e32 v59, 0
	v_lshl_add_u64 v[54:55], v[56:57], 0, v[58:59]
	global_load_dwordx4 v[2:5], v[54:55], off
	global_load_dwordx4 v[6:9], v[54:55], off offset:32
	global_load_dwordx4 v[10:13], v[54:55], off offset:64
	;; [unrolled: 1-line block ×12, first 2 shown]
	v_add3_u32 v1, 0, v0, v58
	s_waitcnt vmcnt(12)
	ds_write_b128 v1, v[2:5]
	s_waitcnt vmcnt(11)
	ds_write_b128 v1, v[6:9] offset:32
	s_waitcnt vmcnt(10)
	ds_write_b128 v1, v[10:13] offset:64
	;; [unrolled: 2-line block ×12, first 2 shown]
.LBB0_13:
	s_or_b64 exec, exec, s[0:1]
	v_add_u32_e32 v89, 0, v0
	v_add_u32_e32 v88, v89, v58
	s_waitcnt lgkmcnt(0)
	; wave barrier
	s_waitcnt lgkmcnt(0)
	v_add3_u32 v59, 0, v58, v0
	ds_read_b128 v[4:7], v88
	ds_read_b128 v[40:43], v59 offset:32
	ds_read_b128 v[36:39], v59 offset:64
	ds_read_b128 v[32:35], v59 offset:96
	ds_read_b128 v[24:27], v59 offset:128
	ds_read_b128 v[16:19], v59 offset:160
	ds_read_b128 v[8:11], v59 offset:192
	ds_read_b128 v[12:15], v59 offset:224
	ds_read_b128 v[20:23], v59 offset:256
	ds_read_b128 v[28:31], v59 offset:288
	s_waitcnt lgkmcnt(8)
	v_add_f64 v[0:1], v[4:5], v[40:41]
	s_waitcnt lgkmcnt(7)
	v_add_f64 v[0:1], v[0:1], v[36:37]
	v_add_f64 v[2:3], v[6:7], v[42:43]
	s_waitcnt lgkmcnt(6)
	v_add_f64 v[0:1], v[0:1], v[32:33]
	;; [unrolled: 3-line block ×4, first 2 shown]
	ds_read_b128 v[48:51], v59 offset:320
	ds_read_b128 v[44:47], v59 offset:352
	v_add_f64 v[2:3], v[2:3], v[26:27]
	s_waitcnt lgkmcnt(5)
	v_add_f64 v[0:1], v[0:1], v[8:9]
	v_add_f64 v[2:3], v[2:3], v[18:19]
	s_waitcnt lgkmcnt(4)
	v_add_f64 v[0:1], v[0:1], v[12:13]
	ds_read_b128 v[72:75], v59 offset:384
	v_add_f64 v[2:3], v[2:3], v[10:11]
	s_waitcnt lgkmcnt(4)
	v_add_f64 v[0:1], v[0:1], v[20:21]
	v_add_f64 v[2:3], v[2:3], v[14:15]
	s_waitcnt lgkmcnt(3)
	v_add_f64 v[0:1], v[0:1], v[28:29]
	;; [unrolled: 3-line block ×4, first 2 shown]
	s_mov_b32 s20, 0x42a4c3d2
	s_mov_b32 s22, 0x66966769
	;; [unrolled: 1-line block ×5, first 2 shown]
	v_add_f64 v[2:3], v[2:3], v[50:51]
	s_waitcnt lgkmcnt(0)
	v_add_f64 v[0:1], v[0:1], v[72:73]
	v_add_f64 v[70:71], v[40:41], v[72:73]
	v_add_f64 v[54:55], v[40:41], -v[72:73]
	v_add_f64 v[72:73], v[42:43], -v[74:75]
	s_mov_b32 s15, 0xbfddbe06
	s_mov_b32 s14, 0x4267c47c
	;; [unrolled: 1-line block ×13, first 2 shown]
	v_add_f64 v[2:3], v[2:3], v[46:47]
	v_add_f64 v[40:41], v[38:39], v[46:47]
	v_add_f64 v[38:39], v[38:39], -v[46:47]
	v_add_f64 v[46:47], v[32:33], v[48:49]
	v_add_f64 v[32:33], v[32:33], -v[48:49]
	;; [unrolled: 2-line block ×5, first 2 shown]
	s_mov_b32 s7, 0x3fec55a7
	v_mul_f64 v[8:9], v[72:73], s[14:15]
	s_mov_b32 s3, 0x3fe22d96
	v_mul_f64 v[12:13], v[72:73], s[20:21]
	;; [unrolled: 2-line block ×5, first 2 shown]
	v_mul_f64 v[92:93], v[72:73], s[26:27]
	s_mov_b32 s19, 0xbfef11f4
	v_add_f64 v[2:3], v[2:3], v[74:75]
	v_add_f64 v[52:53], v[42:43], v[74:75]
	;; [unrolled: 1-line block ×3, first 2 shown]
	v_add_f64 v[36:37], v[36:37], -v[44:45]
	v_add_f64 v[44:45], v[34:35], v[50:51]
	v_add_f64 v[34:35], v[34:35], -v[50:51]
	v_add_f64 v[50:51], v[24:25], v[28:29]
	v_add_f64 v[24:25], v[24:25], -v[28:29]
	v_add_f64 v[28:29], v[18:19], v[22:23]
	v_add_f64 v[22:23], v[18:19], -v[22:23]
	v_add_f64 v[74:75], v[10:11], v[14:15]
	v_add_f64 v[80:81], v[10:11], -v[14:15]
	v_fma_f64 v[10:11], v[70:71], s[6:7], -v[8:9]
	v_fmac_f64_e32 v[8:9], s[6:7], v[70:71]
	v_fma_f64 v[14:15], v[70:71], s[2:3], -v[12:13]
	v_fmac_f64_e32 v[12:13], s[2:3], v[70:71]
	;; [unrolled: 2-line block ×6, first 2 shown]
	v_mul_f64 v[70:71], v[54:55], s[14:15]
	v_mul_f64 v[96:97], v[54:55], s[20:21]
	v_mul_f64 v[100:101], v[54:55], s[22:23]
	v_mul_f64 v[104:105], v[54:55], s[12:13]
	v_mul_f64 v[108:109], v[54:55], s[16:17]
	v_mul_f64 v[54:55], v[54:55], s[26:27]
	v_fma_f64 v[94:95], s[6:7], v[52:53], v[70:71]
	v_fma_f64 v[70:71], v[52:53], s[6:7], -v[70:71]
	v_fma_f64 v[98:99], s[2:3], v[52:53], v[96:97]
	v_fma_f64 v[96:97], v[52:53], s[2:3], -v[96:97]
	;; [unrolled: 2-line block ×6, first 2 shown]
	v_add_f64 v[10:11], v[4:5], v[10:11]
	v_add_f64 v[114:115], v[4:5], v[8:9]
	;; [unrolled: 1-line block ×12, first 2 shown]
	v_mul_f64 v[4:5], v[38:39], s[20:21]
	v_add_f64 v[94:95], v[6:7], v[94:95]
	v_add_f64 v[116:117], v[6:7], v[70:71]
	v_add_f64 v[98:99], v[6:7], v[98:99]
	v_add_f64 v[96:97], v[6:7], v[96:97]
	v_add_f64 v[102:103], v[6:7], v[102:103]
	v_add_f64 v[100:101], v[6:7], v[100:101]
	v_add_f64 v[106:107], v[6:7], v[106:107]
	v_add_f64 v[104:105], v[6:7], v[104:105]
	v_add_f64 v[86:87], v[6:7], v[110:111]
	v_add_f64 v[82:83], v[6:7], v[108:109]
	v_add_f64 v[70:71], v[6:7], v[112:113]
	v_add_f64 v[52:53], v[6:7], v[52:53]
	v_fma_f64 v[6:7], v[42:43], s[2:3], -v[4:5]
	v_mul_f64 v[16:17], v[36:37], s[20:21]
	v_mul_f64 v[18:19], v[34:35], s[22:23]
	v_add_f64 v[6:7], v[6:7], v[10:11]
	v_fma_f64 v[8:9], s[2:3], v[40:41], v[16:17]
	v_fma_f64 v[10:11], v[46:47], s[0:1], -v[18:19]
	v_mul_f64 v[90:91], v[32:33], s[22:23]
	v_add_f64 v[8:9], v[8:9], v[94:95]
	v_add_f64 v[6:7], v[10:11], v[6:7]
	v_fma_f64 v[10:11], s[0:1], v[44:45], v[90:91]
	v_mul_f64 v[92:93], v[26:27], s[12:13]
	v_add_f64 v[8:9], v[10:11], v[8:9]
	v_fma_f64 v[10:11], v[50:51], s[8:9], -v[92:93]
	v_mul_f64 v[94:95], v[24:25], s[12:13]
	v_add_f64 v[6:7], v[10:11], v[6:7]
	v_fma_f64 v[10:11], s[8:9], v[48:49], v[94:95]
	v_mul_f64 v[108:109], v[22:23], s[16:17]
	v_fmac_f64_e32 v[4:5], s[2:3], v[42:43]
	v_add_f64 v[8:9], v[10:11], v[8:9]
	v_fma_f64 v[10:11], v[30:31], s[10:11], -v[108:109]
	v_mul_f64 v[110:111], v[20:21], s[16:17]
	v_add_f64 v[4:5], v[4:5], v[114:115]
	v_fma_f64 v[16:17], v[40:41], s[2:3], -v[16:17]
	v_fmac_f64_e32 v[18:19], s[0:1], v[46:47]
	v_add_f64 v[6:7], v[10:11], v[6:7]
	v_fma_f64 v[10:11], s[10:11], v[28:29], v[110:111]
	v_mul_f64 v[112:113], v[80:81], s[26:27]
	v_add_f64 v[16:17], v[16:17], v[116:117]
	v_add_f64 v[4:5], v[18:19], v[4:5]
	v_fma_f64 v[18:19], v[44:45], s[0:1], -v[90:91]
	v_add_f64 v[10:11], v[10:11], v[8:9]
	v_fma_f64 v[8:9], v[76:77], s[18:19], -v[112:113]
	;; [unrolled: 2-line block ×3, first 2 shown]
	v_add_f64 v[8:9], v[8:9], v[6:7]
	v_mul_f64 v[6:7], v[78:79], s[26:27]
	v_add_f64 v[16:17], v[18:19], v[16:17]
	v_fma_f64 v[18:19], v[28:29], s[10:11], -v[110:111]
	v_fma_f64 v[128:129], s[18:19], v[74:75], v[6:7]
	v_fmac_f64_e32 v[92:93], s[8:9], v[50:51]
	v_add_f64 v[16:17], v[18:19], v[16:17]
	v_fma_f64 v[6:7], v[74:75], s[18:19], -v[6:7]
	v_mul_f64 v[90:91], v[38:39], s[12:13]
	v_add_f64 v[4:5], v[92:93], v[4:5]
	v_add_f64 v[6:7], v[6:7], v[16:17]
	v_fma_f64 v[16:17], v[42:43], s[8:9], -v[90:91]
	v_mul_f64 v[92:93], v[36:37], s[12:13]
	v_add_f64 v[14:15], v[16:17], v[14:15]
	v_fma_f64 v[16:17], s[8:9], v[40:41], v[92:93]
	v_mul_f64 v[94:95], v[34:35], s[26:27]
	v_fmac_f64_e32 v[108:109], s[10:11], v[30:31]
	v_add_f64 v[16:17], v[16:17], v[98:99]
	v_fma_f64 v[18:19], v[46:47], s[18:19], -v[94:95]
	v_mul_f64 v[98:99], v[32:33], s[26:27]
	s_mov_b32 s29, 0x3fe5384d
	s_mov_b32 s28, s16
	v_add_f64 v[4:5], v[108:109], v[4:5]
	v_add_f64 v[14:15], v[18:19], v[14:15]
	v_fma_f64 v[18:19], s[18:19], v[44:45], v[98:99]
	v_mul_f64 v[108:109], v[26:27], s[28:29]
	v_fmac_f64_e32 v[112:113], s[18:19], v[76:77]
	v_add_f64 v[16:17], v[18:19], v[16:17]
	v_fma_f64 v[18:19], v[50:51], s[10:11], -v[108:109]
	v_mul_f64 v[110:111], v[24:25], s[28:29]
	s_mov_b32 s25, 0x3fefc445
	s_mov_b32 s24, s22
	v_add_f64 v[4:5], v[112:113], v[4:5]
	v_add_f64 v[14:15], v[18:19], v[14:15]
	v_fma_f64 v[18:19], s[10:11], v[48:49], v[110:111]
	v_mul_f64 v[112:113], v[22:23], s[24:25]
	v_fmac_f64_e32 v[90:91], s[8:9], v[42:43]
	v_add_f64 v[16:17], v[18:19], v[16:17]
	v_fma_f64 v[18:19], v[30:31], s[0:1], -v[112:113]
	v_mul_f64 v[114:115], v[20:21], s[24:25]
	s_mov_b32 s15, 0x3fddbe06
	v_add_f64 v[12:13], v[90:91], v[12:13]
	v_fma_f64 v[90:91], v[40:41], s[8:9], -v[92:93]
	v_add_f64 v[14:15], v[18:19], v[14:15]
	v_fma_f64 v[18:19], s[0:1], v[28:29], v[114:115]
	v_mul_f64 v[116:117], v[80:81], s[14:15]
	v_add_f64 v[90:91], v[90:91], v[96:97]
	v_fma_f64 v[92:93], v[44:45], s[18:19], -v[98:99]
	v_add_f64 v[18:19], v[18:19], v[16:17]
	v_fma_f64 v[16:17], v[76:77], s[6:7], -v[116:117]
	;; [unrolled: 2-line block ×3, first 2 shown]
	v_add_f64 v[16:17], v[16:17], v[14:15]
	v_mul_f64 v[14:15], v[78:79], s[14:15]
	v_fmac_f64_e32 v[94:95], s[18:19], v[46:47]
	v_add_f64 v[90:91], v[92:93], v[90:91]
	v_fma_f64 v[92:93], v[28:29], s[0:1], -v[114:115]
	v_add_f64 v[10:11], v[128:129], v[10:11]
	v_fma_f64 v[128:129], s[6:7], v[74:75], v[14:15]
	v_add_f64 v[12:13], v[94:95], v[12:13]
	v_add_f64 v[90:91], v[92:93], v[90:91]
	v_fma_f64 v[14:15], v[74:75], s[6:7], -v[14:15]
	v_mul_f64 v[94:95], v[38:39], s[26:27]
	v_mul_f64 v[96:97], v[36:37], s[26:27]
	s_mov_b32 s31, 0x3fedeba7
	s_mov_b32 s30, s12
	v_add_f64 v[14:15], v[14:15], v[90:91]
	v_fma_f64 v[90:91], v[42:43], s[18:19], -v[94:95]
	v_fma_f64 v[92:93], s[18:19], v[40:41], v[96:97]
	v_mul_f64 v[98:99], v[34:35], s[30:31]
	v_add_f64 v[90:91], v[90:91], v[118:119]
	v_add_f64 v[92:93], v[92:93], v[102:103]
	v_fma_f64 v[102:103], v[46:47], s[8:9], -v[98:99]
	v_fmac_f64_e32 v[108:109], s[10:11], v[50:51]
	v_add_f64 v[90:91], v[102:103], v[90:91]
	v_mul_f64 v[102:103], v[32:33], s[30:31]
	v_add_f64 v[12:13], v[108:109], v[12:13]
	v_fma_f64 v[108:109], s[8:9], v[44:45], v[102:103]
	v_add_f64 v[92:93], v[108:109], v[92:93]
	v_mul_f64 v[108:109], v[26:27], s[14:15]
	v_fma_f64 v[110:111], v[50:51], s[6:7], -v[108:109]
	v_fmac_f64_e32 v[112:113], s[0:1], v[30:31]
	v_add_f64 v[90:91], v[110:111], v[90:91]
	v_mul_f64 v[110:111], v[24:25], s[14:15]
	v_add_f64 v[12:13], v[112:113], v[12:13]
	v_fma_f64 v[112:113], s[6:7], v[48:49], v[110:111]
	v_add_f64 v[92:93], v[112:113], v[92:93]
	v_mul_f64 v[112:113], v[22:23], s[20:21]
	v_fma_f64 v[114:115], v[30:31], s[2:3], -v[112:113]
	v_fmac_f64_e32 v[116:117], s[6:7], v[76:77]
	v_add_f64 v[90:91], v[114:115], v[90:91]
	v_mul_f64 v[114:115], v[20:21], s[20:21]
	v_fmac_f64_e32 v[94:95], s[18:19], v[42:43]
	v_add_f64 v[12:13], v[116:117], v[12:13]
	v_fma_f64 v[116:117], s[2:3], v[28:29], v[114:115]
	v_add_f64 v[94:95], v[94:95], v[120:121]
	v_fma_f64 v[96:97], v[40:41], s[18:19], -v[96:97]
	v_fmac_f64_e32 v[98:99], s[8:9], v[46:47]
	v_add_f64 v[92:93], v[116:117], v[92:93]
	v_mul_f64 v[116:117], v[80:81], s[16:17]
	v_add_f64 v[96:97], v[96:97], v[100:101]
	v_add_f64 v[94:95], v[98:99], v[94:95]
	v_fma_f64 v[98:99], v[44:45], s[8:9], -v[102:103]
	v_fma_f64 v[118:119], v[76:77], s[10:11], -v[116:117]
	v_add_f64 v[96:97], v[98:99], v[96:97]
	v_fmac_f64_e32 v[108:109], s[6:7], v[50:51]
	v_fma_f64 v[98:99], v[48:49], s[6:7], -v[110:111]
	v_add_f64 v[90:91], v[118:119], v[90:91]
	v_mul_f64 v[118:119], v[78:79], s[16:17]
	v_add_f64 v[94:95], v[108:109], v[94:95]
	v_add_f64 v[96:97], v[98:99], v[96:97]
	v_fma_f64 v[98:99], v[28:29], s[2:3], -v[114:115]
	v_mul_f64 v[108:109], v[36:37], s[28:29]
	v_add_f64 v[96:97], v[98:99], v[96:97]
	v_fma_f64 v[98:99], v[74:75], s[10:11], -v[118:119]
	v_mul_f64 v[102:103], v[38:39], s[28:29]
	v_fma_f64 v[100:101], s[10:11], v[40:41], v[108:109]
	v_add_f64 v[96:97], v[98:99], v[96:97]
	v_fma_f64 v[98:99], v[42:43], s[10:11], -v[102:103]
	v_add_f64 v[100:101], v[100:101], v[106:107]
	v_mul_f64 v[106:107], v[34:35], s[14:15]
	v_add_f64 v[98:99], v[98:99], v[122:123]
	v_fma_f64 v[110:111], v[46:47], s[6:7], -v[106:107]
	v_fmac_f64_e32 v[112:113], s[2:3], v[30:31]
	v_add_f64 v[98:99], v[110:111], v[98:99]
	v_mul_f64 v[110:111], v[32:33], s[14:15]
	v_add_f64 v[94:95], v[112:113], v[94:95]
	v_fma_f64 v[112:113], s[6:7], v[44:45], v[110:111]
	v_add_f64 v[100:101], v[112:113], v[100:101]
	v_mul_f64 v[112:113], v[26:27], s[22:23]
	v_fma_f64 v[114:115], v[50:51], s[0:1], -v[112:113]
	v_fmac_f64_e32 v[116:117], s[10:11], v[76:77]
	v_add_f64 v[98:99], v[114:115], v[98:99]
	v_mul_f64 v[114:115], v[24:25], s[22:23]
	v_add_f64 v[94:95], v[116:117], v[94:95]
	v_fma_f64 v[116:117], s[0:1], v[48:49], v[114:115]
	s_mov_b32 s27, 0x3fcea1e5
	v_add_f64 v[100:101], v[116:117], v[100:101]
	v_mul_f64 v[116:117], v[22:23], s[26:27]
	v_add_f64 v[18:19], v[128:129], v[18:19]
	v_fma_f64 v[128:129], s[10:11], v[74:75], v[118:119]
	v_fma_f64 v[118:119], v[30:31], s[18:19], -v[116:117]
	v_add_f64 v[98:99], v[118:119], v[98:99]
	v_mul_f64 v[118:119], v[20:21], s[26:27]
	v_fmac_f64_e32 v[102:103], s[10:11], v[42:43]
	v_fma_f64 v[120:121], s[18:19], v[28:29], v[118:119]
	s_mov_b32 s23, 0x3fea55e2
	s_mov_b32 s22, s20
	v_add_f64 v[102:103], v[102:103], v[124:125]
	v_fma_f64 v[108:109], v[40:41], s[10:11], -v[108:109]
	v_fmac_f64_e32 v[106:107], s[6:7], v[46:47]
	v_add_f64 v[100:101], v[120:121], v[100:101]
	v_mul_f64 v[120:121], v[80:81], s[22:23]
	v_add_f64 v[104:105], v[108:109], v[104:105]
	v_add_f64 v[102:103], v[106:107], v[102:103]
	v_fma_f64 v[106:107], v[44:45], s[6:7], -v[110:111]
	v_fma_f64 v[122:123], v[76:77], s[2:3], -v[120:121]
	v_add_f64 v[104:105], v[106:107], v[104:105]
	v_fma_f64 v[106:107], v[48:49], s[0:1], -v[114:115]
	v_add_f64 v[98:99], v[122:123], v[98:99]
	v_mul_f64 v[122:123], v[78:79], s[22:23]
	v_fmac_f64_e32 v[112:113], s[0:1], v[50:51]
	v_add_f64 v[104:105], v[106:107], v[104:105]
	v_fma_f64 v[106:107], v[28:29], s[18:19], -v[118:119]
	v_add_f64 v[102:103], v[112:113], v[102:103]
	v_add_f64 v[104:105], v[106:107], v[104:105]
	v_fma_f64 v[106:107], v[74:75], s[2:3], -v[122:123]
	v_mul_f64 v[110:111], v[38:39], s[24:25]
	v_mul_f64 v[112:113], v[36:37], s[24:25]
	v_fmac_f64_e32 v[116:117], s[18:19], v[30:31]
	v_add_f64 v[104:105], v[106:107], v[104:105]
	v_fma_f64 v[106:107], v[42:43], s[0:1], -v[110:111]
	v_fma_f64 v[108:109], s[0:1], v[40:41], v[112:113]
	v_mul_f64 v[114:115], v[34:35], s[20:21]
	v_add_f64 v[102:103], v[116:117], v[102:103]
	v_add_f64 v[106:107], v[106:107], v[126:127]
	v_add_f64 v[86:87], v[108:109], v[86:87]
	v_fma_f64 v[108:109], v[46:47], s[2:3], -v[114:115]
	v_mul_f64 v[116:117], v[32:33], s[20:21]
	v_fmac_f64_e32 v[120:121], s[2:3], v[76:77]
	v_add_f64 v[106:107], v[108:109], v[106:107]
	v_fma_f64 v[108:109], s[2:3], v[44:45], v[116:117]
	v_mul_f64 v[118:119], v[26:27], s[26:27]
	v_add_f64 v[102:103], v[120:121], v[102:103]
	v_add_f64 v[86:87], v[108:109], v[86:87]
	v_fma_f64 v[108:109], v[50:51], s[18:19], -v[118:119]
	v_mul_f64 v[120:121], v[24:25], s[26:27]
	v_add_f64 v[92:93], v[128:129], v[92:93]
	v_fma_f64 v[128:129], s[2:3], v[74:75], v[122:123]
	v_add_f64 v[106:107], v[108:109], v[106:107]
	v_fma_f64 v[108:109], s[18:19], v[48:49], v[120:121]
	v_mul_f64 v[122:123], v[22:23], s[14:15]
	v_add_f64 v[86:87], v[108:109], v[86:87]
	v_fma_f64 v[108:109], v[30:31], s[6:7], -v[122:123]
	v_mul_f64 v[124:125], v[20:21], s[14:15]
	v_add_f64 v[106:107], v[108:109], v[106:107]
	v_fma_f64 v[108:109], s[6:7], v[28:29], v[124:125]
	v_mul_f64 v[126:127], v[80:81], s[12:13]
	v_add_f64 v[100:101], v[128:129], v[100:101]
	v_add_f64 v[86:87], v[108:109], v[86:87]
	v_fma_f64 v[108:109], v[76:77], s[8:9], -v[126:127]
	v_mul_f64 v[128:129], v[78:79], s[12:13]
	v_add_f64 v[106:107], v[108:109], v[106:107]
	v_fma_f64 v[108:109], s[8:9], v[74:75], v[128:129]
	v_fmac_f64_e32 v[110:111], s[0:1], v[42:43]
	v_add_f64 v[108:109], v[108:109], v[86:87]
	v_add_f64 v[84:85], v[110:111], v[84:85]
	v_fma_f64 v[86:87], v[40:41], s[0:1], -v[112:113]
	v_fmac_f64_e32 v[114:115], s[2:3], v[46:47]
	v_add_f64 v[82:83], v[86:87], v[82:83]
	v_add_f64 v[84:85], v[114:115], v[84:85]
	v_fma_f64 v[86:87], v[44:45], s[2:3], -v[116:117]
	;; [unrolled: 4-line block ×5, first 2 shown]
	v_mul_f64 v[38:39], v[38:39], s[14:15]
	v_add_f64 v[84:85], v[84:85], v[86:87]
	v_fma_f64 v[86:87], v[42:43], s[6:7], -v[38:39]
	v_mul_f64 v[36:37], v[36:37], s[14:15]
	v_add_f64 v[72:73], v[86:87], v[72:73]
	v_fma_f64 v[86:87], s[6:7], v[40:41], v[36:37]
	v_mul_f64 v[34:35], v[34:35], s[16:17]
	v_add_f64 v[70:71], v[86:87], v[70:71]
	v_fma_f64 v[86:87], v[46:47], s[10:11], -v[34:35]
	v_mul_f64 v[32:33], v[32:33], s[16:17]
	v_add_f64 v[72:73], v[86:87], v[72:73]
	v_fma_f64 v[86:87], s[10:11], v[44:45], v[32:33]
	;; [unrolled: 6-line block ×3, first 2 shown]
	v_add_f64 v[70:71], v[86:87], v[70:71]
	v_mul_f64 v[86:87], v[22:23], s[12:13]
	v_fma_f64 v[22:23], v[30:31], s[8:9], -v[86:87]
	v_fmac_f64_e32 v[38:39], s[6:7], v[42:43]
	v_fma_f64 v[36:37], v[40:41], s[6:7], -v[36:37]
	v_add_f64 v[22:23], v[22:23], v[72:73]
	v_mul_f64 v[72:73], v[20:21], s[12:13]
	v_add_f64 v[38:39], v[38:39], v[54:55]
	v_add_f64 v[36:37], v[36:37], v[52:53]
	v_fmac_f64_e32 v[34:35], s[10:11], v[46:47]
	v_fma_f64 v[32:33], v[44:45], s[10:11], -v[32:33]
	v_fma_f64 v[20:21], s[8:9], v[28:29], v[72:73]
	v_mul_f64 v[80:81], v[80:81], s[24:25]
	v_add_f64 v[34:35], v[34:35], v[38:39]
	v_add_f64 v[32:33], v[32:33], v[36:37]
	v_fmac_f64_e32 v[26:27], s[2:3], v[50:51]
	v_fma_f64 v[24:25], v[48:49], s[2:3], -v[24:25]
	v_add_f64 v[70:71], v[20:21], v[70:71]
	v_fma_f64 v[20:21], v[76:77], s[0:1], -v[80:81]
	v_mul_f64 v[78:79], v[78:79], s[24:25]
	v_add_f64 v[26:27], v[26:27], v[34:35]
	v_add_f64 v[24:25], v[24:25], v[32:33]
	v_fmac_f64_e32 v[86:87], s[8:9], v[30:31]
	v_fma_f64 v[28:29], v[28:29], s[8:9], -v[72:73]
	v_add_f64 v[20:21], v[20:21], v[22:23]
	v_fma_f64 v[22:23], s[0:1], v[74:75], v[78:79]
	v_add_f64 v[26:27], v[86:87], v[26:27]
	v_add_f64 v[28:29], v[28:29], v[24:25]
	v_fmac_f64_e32 v[80:81], s[0:1], v[76:77]
	v_fma_f64 v[30:31], v[74:75], s[0:1], -v[78:79]
	s_movk_i32 s0, 0xd0
	v_add_f64 v[22:23], v[22:23], v[70:71]
	v_add_f64 v[24:25], v[80:81], v[26:27]
	;; [unrolled: 1-line block ×3, first 2 shown]
	v_mad_u32_u24 v28, v61, s0, v89
	v_lshl_add_u32 v77, v68, 4, v89
	v_lshl_add_u32 v75, v64, 4, v89
	s_waitcnt lgkmcnt(0)
	; wave barrier
	ds_write_b128 v28, v[0:3]
	ds_write_b128 v28, v[8:11] offset:16
	ds_write_b128 v28, v[16:19] offset:32
	;; [unrolled: 1-line block ×12, first 2 shown]
	s_waitcnt lgkmcnt(0)
	; wave barrier
	s_waitcnt lgkmcnt(0)
	ds_read_b128 v[28:31], v88
	ds_read_b128 v[52:55], v59 offset:208
	v_lshl_add_u32 v78, v60, 4, v89
	ds_read_b128 v[48:51], v59 offset:240
	ds_read_b128 v[24:27], v59 offset:272
	v_lshl_add_u32 v76, v66, 4, v89
	ds_read_b128 v[12:15], v77
	ds_read_b128 v[8:11], v76
	ds_read_b128 v[32:35], v59 offset:304
	ds_read_b128 v[36:39], v59 offset:336
	v_lshl_add_u32 v74, v62, 4, v89
	ds_read_b128 v[20:23], v75
	ds_read_b128 v[16:19], v74
	;; [unrolled: 1-line block ×3, first 2 shown]
	ds_read_b128 v[44:47], v59 offset:368
	v_cmp_ne_u32_e64 s[0:1], 0, v61
	v_cmp_eq_u32_e64 s[2:3], 0, v61
	v_mov_b64_e32 v[72:73], 0
                                        ; implicit-def: $vgpr2_vgpr3
	s_and_saveexec_b64 s[6:7], s[2:3]
	s_cbranch_execz .LBB0_15
; %bb.14:
	ds_read_b128 v[4:7], v89 offset:192
	ds_read_b128 v[0:3], v89 offset:400
	v_mov_b64_e32 v[72:73], 12
.LBB0_15:
	s_or_b64 exec, exec, s[6:7]
	v_mov_b32_e32 v61, 0
	global_load_dwordx4 v[80:83], v58, s[4:5]
	v_lshl_add_u64 v[70:71], v[60:61], 4, s[4:5]
	v_mov_b32_e32 v69, v61
	v_mov_b32_e32 v67, v61
	;; [unrolled: 1-line block ×4, first 2 shown]
	global_load_dwordx4 v[84:87], v[70:71], off
	v_lshl_add_u64 v[68:69], v[68:69], 4, s[4:5]
	global_load_dwordx4 v[90:93], v[68:69], off
	v_lshl_add_u64 v[66:67], v[66:67], 4, s[4:5]
	v_lshl_add_u64 v[64:65], v[64:65], 4, s[4:5]
	v_lshl_add_u64 v[62:63], v[62:63], 4, s[4:5]
	global_load_dwordx4 v[94:97], v[66:67], off
	global_load_dwordx4 v[98:101], v[64:65], off
	;; [unrolled: 1-line block ×3, first 2 shown]
	s_waitcnt lgkmcnt(0)
	; wave barrier
	s_waitcnt vmcnt(5) lgkmcnt(0)
	v_mul_f64 v[106:107], v[54:55], v[82:83]
	v_mul_f64 v[82:83], v[52:53], v[82:83]
	v_fma_f64 v[52:53], v[52:53], v[80:81], -v[106:107]
	v_fmac_f64_e32 v[82:83], v[54:55], v[80:81]
	v_add_f64 v[52:53], v[28:29], -v[52:53]
	v_add_f64 v[54:55], v[30:31], -v[82:83]
	s_waitcnt vmcnt(4)
	v_mul_f64 v[80:81], v[50:51], v[86:87]
	v_mul_f64 v[86:87], v[48:49], v[86:87]
	v_fma_f64 v[48:49], v[48:49], v[84:85], -v[80:81]
	v_fmac_f64_e32 v[86:87], v[50:51], v[84:85]
	s_waitcnt vmcnt(3)
	v_mul_f64 v[50:51], v[26:27], v[92:93]
	v_mul_f64 v[80:81], v[24:25], v[92:93]
	s_waitcnt vmcnt(2)
	v_mul_f64 v[82:83], v[34:35], v[96:97]
	v_mul_f64 v[84:85], v[32:33], v[96:97]
	;; [unrolled: 3-line block ×4, first 2 shown]
	v_fma_f64 v[28:29], v[28:29], 2.0, -v[52:53]
	v_fma_f64 v[30:31], v[30:31], 2.0, -v[54:55]
	ds_write_b128 v59, v[52:55] offset:208
	v_fma_f64 v[50:51], v[24:25], v[90:91], -v[50:51]
	v_fmac_f64_e32 v[80:81], v[26:27], v[90:91]
	v_fma_f64 v[52:53], v[32:33], v[94:95], -v[82:83]
	v_fmac_f64_e32 v[84:85], v[34:35], v[94:95]
	;; [unrolled: 2-line block ×4, first 2 shown]
	v_add_f64 v[24:25], v[40:41], -v[48:49]
	v_add_f64 v[26:27], v[42:43], -v[86:87]
	ds_write_b128 v59, v[28:31]
	v_fma_f64 v[28:29], v[40:41], 2.0, -v[24:25]
	v_fma_f64 v[30:31], v[42:43], 2.0, -v[26:27]
	v_add_f64 v[32:33], v[12:13], -v[50:51]
	v_add_f64 v[34:35], v[14:15], -v[80:81]
	;; [unrolled: 1-line block ×8, first 2 shown]
	ds_write_b128 v78, v[24:27] offset:208
	v_fma_f64 v[12:13], v[12:13], 2.0, -v[32:33]
	v_fma_f64 v[14:15], v[14:15], 2.0, -v[34:35]
	;; [unrolled: 1-line block ×8, first 2 shown]
	ds_write_b128 v78, v[28:31]
	ds_write_b128 v77, v[32:35] offset:208
	ds_write_b128 v77, v[12:15]
	ds_write_b128 v76, v[8:11]
	ds_write_b128 v76, v[36:39] offset:208
	ds_write_b128 v75, v[20:23]
	ds_write_b128 v75, v[40:43] offset:208
	;; [unrolled: 2-line block ×3, first 2 shown]
	s_and_saveexec_b64 s[6:7], s[2:3]
	s_cbranch_execz .LBB0_17
; %bb.16:
	v_lshlrev_b32_e32 v8, 4, v72
	global_load_dwordx4 v[8:11], v8, s[4:5]
	s_waitcnt vmcnt(0)
	v_mul_f64 v[12:13], v[0:1], v[10:11]
	v_mul_f64 v[10:11], v[2:3], v[10:11]
	v_fmac_f64_e32 v[12:13], v[2:3], v[8:9]
	v_fma_f64 v[0:1], v[0:1], v[8:9], -v[10:11]
	v_add_f64 v[2:3], v[6:7], -v[12:13]
	v_add_f64 v[0:1], v[4:5], -v[0:1]
	v_fma_f64 v[6:7], v[6:7], 2.0, -v[2:3]
	v_fma_f64 v[4:5], v[4:5], 2.0, -v[0:1]
	ds_write_b128 v89, v[4:7] offset:192
	ds_write_b128 v89, v[0:3] offset:400
.LBB0_17:
	s_or_b64 exec, exec, s[6:7]
	s_waitcnt lgkmcnt(0)
	; wave barrier
	s_waitcnt lgkmcnt(0)
	ds_read_b128 v[8:11], v88
	v_sub_u32_e32 v12, v89, v58
                                        ; implicit-def: $vgpr6_vgpr7
                                        ; implicit-def: $vgpr2_vgpr3
	s_and_saveexec_b64 s[6:7], s[0:1]
	s_xor_b64 s[6:7], exec, s[6:7]
	s_cbranch_execz .LBB0_19
; %bb.18:
	v_mov_b32_e32 v59, v61
	v_lshl_add_u64 v[0:1], s[4:5], 0, v[58:59]
	global_load_dwordx4 v[14:17], v[0:1], off offset:208
	ds_read_b128 v[0:3], v12 offset:416
	s_waitcnt lgkmcnt(0)
	v_add_f64 v[4:5], v[8:9], v[0:1]
	v_add_f64 v[0:1], v[8:9], -v[0:1]
	v_add_f64 v[6:7], v[10:11], v[2:3]
	v_add_f64 v[2:3], v[10:11], -v[2:3]
	v_mul_f64 v[8:9], v[0:1], 0.5
	v_mul_f64 v[6:7], v[6:7], 0.5
	v_mul_f64 v[0:1], v[2:3], 0.5
	s_waitcnt vmcnt(0)
	v_mul_f64 v[10:11], v[8:9], v[16:17]
	v_fma_f64 v[2:3], v[6:7], v[16:17], v[0:1]
	v_fma_f64 v[16:17], v[6:7], v[16:17], -v[0:1]
	v_fma_f64 v[0:1], 0.5, v[4:5], v[10:11]
	v_fma_f64 v[4:5], v[4:5], 0.5, -v[10:11]
	v_fma_f64 v[2:3], -v[14:15], v[8:9], v[2:3]
	v_fmac_f64_e32 v[0:1], v[6:7], v[14:15]
	v_fma_f64 v[4:5], -v[6:7], v[14:15], v[4:5]
	v_fma_f64 v[6:7], -v[14:15], v[8:9], v[16:17]
                                        ; implicit-def: $vgpr8_vgpr9
.LBB0_19:
	s_andn2_saveexec_b64 s[6:7], s[6:7]
	s_cbranch_execz .LBB0_21
; %bb.20:
	ds_read_b64 v[6:7], v89 offset:216
	v_mov_b64_e32 v[2:3], 0
	s_waitcnt lgkmcnt(1)
	v_add_f64 v[0:1], v[8:9], v[10:11]
	v_add_f64 v[4:5], v[8:9], -v[10:11]
	s_waitcnt lgkmcnt(0)
	v_xor_b32_e32 v7, 0x80000000, v7
	ds_write_b64 v89, v[6:7] offset:216
	v_mov_b64_e32 v[6:7], v[2:3]
.LBB0_21:
	s_or_b64 exec, exec, s[6:7]
	s_waitcnt lgkmcnt(0)
	global_load_dwordx4 v[8:11], v[70:71], off offset:208
	global_load_dwordx4 v[14:17], v[68:69], off offset:208
	;; [unrolled: 1-line block ×3, first 2 shown]
	ds_write_b128 v88, v[0:3]
	ds_write_b128 v12, v[4:7] offset:416
	ds_read_b128 v[0:3], v78
	ds_read_b128 v[4:7], v12 offset:384
	global_load_dwordx4 v[22:25], v[64:65], off offset:208
	s_waitcnt lgkmcnt(0)
	v_add_f64 v[26:27], v[0:1], v[4:5]
	v_add_f64 v[0:1], v[0:1], -v[4:5]
	v_add_f64 v[28:29], v[2:3], v[6:7]
	v_add_f64 v[2:3], v[2:3], -v[6:7]
	v_mul_f64 v[6:7], v[0:1], 0.5
	v_mul_f64 v[4:5], v[28:29], 0.5
	;; [unrolled: 1-line block ×3, first 2 shown]
	s_waitcnt vmcnt(3)
	v_mul_f64 v[28:29], v[6:7], v[10:11]
	v_fma_f64 v[2:3], v[4:5], v[10:11], v[0:1]
	v_fma_f64 v[10:11], v[4:5], v[10:11], -v[0:1]
	v_fma_f64 v[0:1], 0.5, v[26:27], v[28:29]
	v_fma_f64 v[2:3], -v[8:9], v[6:7], v[2:3]
	v_fma_f64 v[26:27], v[26:27], 0.5, -v[28:29]
	v_fmac_f64_e32 v[0:1], v[4:5], v[8:9]
	v_fma_f64 v[6:7], -v[8:9], v[6:7], v[10:11]
	v_fma_f64 v[4:5], -v[4:5], v[8:9], v[26:27]
	ds_write_b128 v78, v[0:3]
	ds_write_b128 v12, v[4:7] offset:384
	ds_read_b128 v[0:3], v77
	ds_read_b128 v[4:7], v12 offset:352
	global_load_dwordx4 v[8:11], v[62:63], off offset:208
	s_waitcnt lgkmcnt(0)
	v_add_f64 v[26:27], v[0:1], v[4:5]
	v_add_f64 v[0:1], v[0:1], -v[4:5]
	v_add_f64 v[28:29], v[2:3], v[6:7]
	v_add_f64 v[2:3], v[2:3], -v[6:7]
	v_mul_f64 v[6:7], v[0:1], 0.5
	v_mul_f64 v[4:5], v[28:29], 0.5
	v_mul_f64 v[0:1], v[2:3], 0.5
	s_waitcnt vmcnt(3)
	v_mul_f64 v[28:29], v[6:7], v[16:17]
	v_fma_f64 v[2:3], v[4:5], v[16:17], v[0:1]
	v_fma_f64 v[16:17], v[4:5], v[16:17], -v[0:1]
	v_fma_f64 v[0:1], 0.5, v[26:27], v[28:29]
	v_fma_f64 v[2:3], -v[14:15], v[6:7], v[2:3]
	v_fma_f64 v[26:27], v[26:27], 0.5, -v[28:29]
	v_fmac_f64_e32 v[0:1], v[4:5], v[14:15]
	v_fma_f64 v[6:7], -v[14:15], v[6:7], v[16:17]
	v_fma_f64 v[4:5], -v[4:5], v[14:15], v[26:27]
	ds_write_b128 v77, v[0:3]
	ds_write_b128 v12, v[4:7] offset:352
	ds_read_b128 v[0:3], v76
	ds_read_b128 v[4:7], v12 offset:320
	s_waitcnt lgkmcnt(0)
	v_add_f64 v[14:15], v[0:1], v[4:5]
	v_add_f64 v[0:1], v[0:1], -v[4:5]
	v_add_f64 v[16:17], v[2:3], v[6:7]
	v_add_f64 v[2:3], v[2:3], -v[6:7]
	v_mul_f64 v[6:7], v[0:1], 0.5
	v_mul_f64 v[4:5], v[16:17], 0.5
	v_mul_f64 v[0:1], v[2:3], 0.5
	s_waitcnt vmcnt(2)
	v_mul_f64 v[16:17], v[6:7], v[20:21]
	v_fma_f64 v[2:3], v[4:5], v[20:21], v[0:1]
	v_fma_f64 v[20:21], v[4:5], v[20:21], -v[0:1]
	v_fma_f64 v[0:1], 0.5, v[14:15], v[16:17]
	v_fma_f64 v[2:3], -v[18:19], v[6:7], v[2:3]
	v_fma_f64 v[14:15], v[14:15], 0.5, -v[16:17]
	v_fmac_f64_e32 v[0:1], v[4:5], v[18:19]
	v_fma_f64 v[6:7], -v[18:19], v[6:7], v[20:21]
	v_fma_f64 v[4:5], -v[4:5], v[18:19], v[14:15]
	ds_write_b128 v76, v[0:3]
	ds_write_b128 v12, v[4:7] offset:320
	ds_read_b128 v[0:3], v75
	ds_read_b128 v[4:7], v12 offset:288
	;; [unrolled: 22-line block ×3, first 2 shown]
	s_waitcnt lgkmcnt(0)
	v_add_f64 v[14:15], v[0:1], v[4:5]
	v_add_f64 v[0:1], v[0:1], -v[4:5]
	v_add_f64 v[16:17], v[2:3], v[6:7]
	v_add_f64 v[2:3], v[2:3], -v[6:7]
	v_mul_f64 v[6:7], v[0:1], 0.5
	v_mul_f64 v[4:5], v[16:17], 0.5
	;; [unrolled: 1-line block ×3, first 2 shown]
	s_waitcnt vmcnt(0)
	v_mul_f64 v[16:17], v[6:7], v[10:11]
	v_fma_f64 v[2:3], v[4:5], v[10:11], v[0:1]
	v_fma_f64 v[10:11], v[4:5], v[10:11], -v[0:1]
	v_fma_f64 v[0:1], 0.5, v[14:15], v[16:17]
	v_fma_f64 v[2:3], -v[8:9], v[6:7], v[2:3]
	v_fma_f64 v[14:15], v[14:15], 0.5, -v[16:17]
	v_fmac_f64_e32 v[0:1], v[4:5], v[8:9]
	v_fma_f64 v[6:7], -v[8:9], v[6:7], v[10:11]
	v_fma_f64 v[4:5], -v[4:5], v[8:9], v[14:15]
	ds_write_b128 v74, v[0:3]
	ds_write_b128 v12, v[4:7] offset:256
	s_and_saveexec_b64 s[6:7], s[2:3]
	s_cbranch_execz .LBB0_23
; %bb.22:
	ds_read_b128 v[0:3], v89 offset:192
	ds_read_b128 v[4:7], v89 offset:224
	s_load_dwordx4 s[8:11], s[4:5], 0x190
	s_waitcnt lgkmcnt(0)
	v_add_f64 v[8:9], v[0:1], v[4:5]
	v_add_f64 v[0:1], v[0:1], -v[4:5]
	v_add_f64 v[10:11], v[2:3], v[6:7]
	v_add_f64 v[2:3], v[2:3], -v[6:7]
	v_mul_f64 v[6:7], v[0:1], 0.5
	v_mul_f64 v[4:5], v[10:11], 0.5
	;; [unrolled: 1-line block ×3, first 2 shown]
	v_mul_f64 v[12:13], v[6:7], s[10:11]
	v_fma_f64 v[0:1], 0.5, v[8:9], v[12:13]
	v_fma_f64 v[2:3], s[10:11], v[4:5], v[10:11]
	v_fmac_f64_e32 v[0:1], s[8:9], v[4:5]
	v_fma_f64 v[2:3], -s[8:9], v[6:7], v[2:3]
	ds_write_b128 v89, v[0:3] offset:192
	v_fma_f64 v[0:1], v[8:9], 0.5, -v[12:13]
	v_fma_f64 v[2:3], v[4:5], s[10:11], -v[10:11]
	v_fma_f64 v[0:1], -v[4:5], s[8:9], v[0:1]
	v_fma_f64 v[2:3], -s[8:9], v[6:7], v[2:3]
	ds_write_b128 v89, v[0:3] offset:224
.LBB0_23:
	s_or_b64 exec, exec, s[6:7]
	s_waitcnt lgkmcnt(0)
	; wave barrier
	s_waitcnt lgkmcnt(0)
	s_and_saveexec_b64 s[2:3], vcc
	s_cbranch_execz .LBB0_26
; %bb.24:
	ds_read_b128 v[0:3], v88
	ds_read_b128 v[4:7], v88 offset:32
	ds_read_b128 v[8:11], v88 offset:64
	v_mov_b32_e32 v59, 0
	v_lshl_add_u64 v[20:21], v[56:57], 0, v[58:59]
	s_waitcnt lgkmcnt(2)
	global_store_dwordx4 v[20:21], v[0:3], off
	s_waitcnt lgkmcnt(1)
	global_store_dwordx4 v[20:21], v[4:7], off offset:32
	s_waitcnt lgkmcnt(0)
	global_store_dwordx4 v[20:21], v[8:11], off offset:64
	ds_read_b128 v[0:3], v88 offset:96
	ds_read_b128 v[4:7], v88 offset:128
	;; [unrolled: 1-line block ×5, first 2 shown]
	s_waitcnt lgkmcnt(4)
	global_store_dwordx4 v[20:21], v[0:3], off offset:96
	s_waitcnt lgkmcnt(3)
	global_store_dwordx4 v[20:21], v[4:7], off offset:128
	;; [unrolled: 2-line block ×5, first 2 shown]
	ds_read_b128 v[0:3], v88 offset:256
	ds_read_b128 v[4:7], v88 offset:288
	;; [unrolled: 1-line block ×5, first 2 shown]
	s_waitcnt lgkmcnt(4)
	global_store_dwordx4 v[20:21], v[0:3], off offset:256
	s_waitcnt lgkmcnt(3)
	global_store_dwordx4 v[20:21], v[4:7], off offset:288
	;; [unrolled: 2-line block ×5, first 2 shown]
	s_and_b64 exec, exec, s[0:1]
	s_cbranch_execz .LBB0_26
; %bb.25:
	ds_read_b128 v[0:3], v88 offset:400
	s_waitcnt lgkmcnt(0)
	global_store_dwordx4 v[56:57], v[0:3], off offset:416
.LBB0_26:
	s_endpgm
	.section	.rodata,"a",@progbits
	.p2align	6, 0x0
	.amdhsa_kernel fft_rtc_fwd_len26_factors_13_2_wgs_64_tpt_2_halfLds_dp_ip_CI_unitstride_sbrr_R2C_dirReg
		.amdhsa_group_segment_fixed_size 0
		.amdhsa_private_segment_fixed_size 0
		.amdhsa_kernarg_size 88
		.amdhsa_user_sgpr_count 2
		.amdhsa_user_sgpr_dispatch_ptr 0
		.amdhsa_user_sgpr_queue_ptr 0
		.amdhsa_user_sgpr_kernarg_segment_ptr 1
		.amdhsa_user_sgpr_dispatch_id 0
		.amdhsa_user_sgpr_kernarg_preload_length 0
		.amdhsa_user_sgpr_kernarg_preload_offset 0
		.amdhsa_user_sgpr_private_segment_size 0
		.amdhsa_uses_dynamic_stack 0
		.amdhsa_enable_private_segment 0
		.amdhsa_system_sgpr_workgroup_id_x 1
		.amdhsa_system_sgpr_workgroup_id_y 0
		.amdhsa_system_sgpr_workgroup_id_z 0
		.amdhsa_system_sgpr_workgroup_info 0
		.amdhsa_system_vgpr_workitem_id 0
		.amdhsa_next_free_vgpr 130
		.amdhsa_next_free_sgpr 32
		.amdhsa_accum_offset 132
		.amdhsa_reserve_vcc 1
		.amdhsa_float_round_mode_32 0
		.amdhsa_float_round_mode_16_64 0
		.amdhsa_float_denorm_mode_32 3
		.amdhsa_float_denorm_mode_16_64 3
		.amdhsa_dx10_clamp 1
		.amdhsa_ieee_mode 1
		.amdhsa_fp16_overflow 0
		.amdhsa_tg_split 0
		.amdhsa_exception_fp_ieee_invalid_op 0
		.amdhsa_exception_fp_denorm_src 0
		.amdhsa_exception_fp_ieee_div_zero 0
		.amdhsa_exception_fp_ieee_overflow 0
		.amdhsa_exception_fp_ieee_underflow 0
		.amdhsa_exception_fp_ieee_inexact 0
		.amdhsa_exception_int_div_zero 0
	.end_amdhsa_kernel
	.text
.Lfunc_end0:
	.size	fft_rtc_fwd_len26_factors_13_2_wgs_64_tpt_2_halfLds_dp_ip_CI_unitstride_sbrr_R2C_dirReg, .Lfunc_end0-fft_rtc_fwd_len26_factors_13_2_wgs_64_tpt_2_halfLds_dp_ip_CI_unitstride_sbrr_R2C_dirReg
                                        ; -- End function
	.section	.AMDGPU.csdata,"",@progbits
; Kernel info:
; codeLenInByte = 7732
; NumSgprs: 38
; NumVgprs: 130
; NumAgprs: 0
; TotalNumVgprs: 130
; ScratchSize: 0
; MemoryBound: 0
; FloatMode: 240
; IeeeMode: 1
; LDSByteSize: 0 bytes/workgroup (compile time only)
; SGPRBlocks: 4
; VGPRBlocks: 16
; NumSGPRsForWavesPerEU: 38
; NumVGPRsForWavesPerEU: 130
; AccumOffset: 132
; Occupancy: 3
; WaveLimiterHint : 1
; COMPUTE_PGM_RSRC2:SCRATCH_EN: 0
; COMPUTE_PGM_RSRC2:USER_SGPR: 2
; COMPUTE_PGM_RSRC2:TRAP_HANDLER: 0
; COMPUTE_PGM_RSRC2:TGID_X_EN: 1
; COMPUTE_PGM_RSRC2:TGID_Y_EN: 0
; COMPUTE_PGM_RSRC2:TGID_Z_EN: 0
; COMPUTE_PGM_RSRC2:TIDIG_COMP_CNT: 0
; COMPUTE_PGM_RSRC3_GFX90A:ACCUM_OFFSET: 32
; COMPUTE_PGM_RSRC3_GFX90A:TG_SPLIT: 0
	.text
	.p2alignl 6, 3212836864
	.fill 256, 4, 3212836864
	.type	__hip_cuid_602d36c1f42c8610,@object ; @__hip_cuid_602d36c1f42c8610
	.section	.bss,"aw",@nobits
	.globl	__hip_cuid_602d36c1f42c8610
__hip_cuid_602d36c1f42c8610:
	.byte	0                               ; 0x0
	.size	__hip_cuid_602d36c1f42c8610, 1

	.ident	"AMD clang version 19.0.0git (https://github.com/RadeonOpenCompute/llvm-project roc-6.4.0 25133 c7fe45cf4b819c5991fe208aaa96edf142730f1d)"
	.section	".note.GNU-stack","",@progbits
	.addrsig
	.addrsig_sym __hip_cuid_602d36c1f42c8610
	.amdgpu_metadata
---
amdhsa.kernels:
  - .agpr_count:     0
    .args:
      - .actual_access:  read_only
        .address_space:  global
        .offset:         0
        .size:           8
        .value_kind:     global_buffer
      - .offset:         8
        .size:           8
        .value_kind:     by_value
      - .actual_access:  read_only
        .address_space:  global
        .offset:         16
        .size:           8
        .value_kind:     global_buffer
      - .actual_access:  read_only
        .address_space:  global
        .offset:         24
        .size:           8
        .value_kind:     global_buffer
      - .offset:         32
        .size:           8
        .value_kind:     by_value
      - .actual_access:  read_only
        .address_space:  global
        .offset:         40
        .size:           8
        .value_kind:     global_buffer
      - .actual_access:  read_only
        .address_space:  global
        .offset:         48
        .size:           8
        .value_kind:     global_buffer
      - .offset:         56
        .size:           4
        .value_kind:     by_value
      - .actual_access:  read_only
        .address_space:  global
        .offset:         64
        .size:           8
        .value_kind:     global_buffer
      - .actual_access:  read_only
        .address_space:  global
        .offset:         72
        .size:           8
        .value_kind:     global_buffer
      - .address_space:  global
        .offset:         80
        .size:           8
        .value_kind:     global_buffer
    .group_segment_fixed_size: 0
    .kernarg_segment_align: 8
    .kernarg_segment_size: 88
    .language:       OpenCL C
    .language_version:
      - 2
      - 0
    .max_flat_workgroup_size: 64
    .name:           fft_rtc_fwd_len26_factors_13_2_wgs_64_tpt_2_halfLds_dp_ip_CI_unitstride_sbrr_R2C_dirReg
    .private_segment_fixed_size: 0
    .sgpr_count:     38
    .sgpr_spill_count: 0
    .symbol:         fft_rtc_fwd_len26_factors_13_2_wgs_64_tpt_2_halfLds_dp_ip_CI_unitstride_sbrr_R2C_dirReg.kd
    .uniform_work_group_size: 1
    .uses_dynamic_stack: false
    .vgpr_count:     130
    .vgpr_spill_count: 0
    .wavefront_size: 64
amdhsa.target:   amdgcn-amd-amdhsa--gfx950
amdhsa.version:
  - 1
  - 2
...

	.end_amdgpu_metadata
